;; amdgpu-corpus repo=zjin-lcf/HeCBench kind=compiled arch=gfx950 opt=O3
	.amdgcn_target "amdgcn-amd-amdhsa--gfx950"
	.amdhsa_code_object_version 6
	.text
	.protected	_Z14generate_tablePiii  ; -- Begin function _Z14generate_tablePiii
	.globl	_Z14generate_tablePiii
	.p2align	8
	.type	_Z14generate_tablePiii,@function
_Z14generate_tablePiii:                 ; @_Z14generate_tablePiii
; %bb.0:
	s_load_dword s3, s[0:1], 0x1c
	s_load_dwordx2 s[4:5], s[0:1], 0x8
	s_add_u32 s6, s0, 16
	s_addc_u32 s7, s1, 0
	s_waitcnt lgkmcnt(0)
	s_and_b32 s3, s3, 0xffff
	s_mul_i32 s8, s2, s3
	v_add_u32_e32 v2, s8, v0
	v_cmp_gt_i32_e32 vcc, s4, v2
	s_and_saveexec_b64 s[8:9], vcc
	s_cbranch_execz .LBB0_8
; %bb.1:
	s_load_dword s10, s[6:7], 0x0
	s_load_dwordx2 s[8:9], s[0:1], 0x0
	s_waitcnt lgkmcnt(0)
	s_mul_i32 s6, s10, s3
	v_cvt_f32_u32_e32 v1, s6
	s_add_i32 s0, s2, s10
	s_mul_i32 s0, s0, s3
	s_sub_i32 s2, 0, s6
	v_rcp_iflag_f32_e32 v1, v1
	v_add_u32_e32 v3, s0, v0
	v_mov_b32_e32 v4, s0
	v_max_i32_e32 v5, s4, v3
	v_mul_f32_e32 v1, 0x4f7ffffe, v1
	v_cvt_u32_f32_e32 v1, v1
	v_cmp_gt_i32_e32 vcc, s4, v3
	v_mul_lo_u32 v3, s2, v1
	s_nop 0
	v_addc_co_u32_e64 v0, s[0:1], v0, v4, vcc
	v_mul_hi_u32 v3, v1, v3
	v_sub_u32_e32 v0, v5, v0
	v_add_u32_e32 v1, v1, v3
	v_mul_hi_u32 v1, v0, v1
	v_mul_lo_u32 v3, v1, s6
	v_sub_u32_e32 v0, v0, v3
	v_add_u32_e32 v4, 1, v1
	v_cmp_le_u32_e64 s[0:1], s6, v0
	v_subrev_u32_e32 v3, s6, v0
	s_mov_b64 s[2:3], -1
	v_cndmask_b32_e64 v1, v1, v4, s[0:1]
	v_cndmask_b32_e64 v0, v0, v3, s[0:1]
	v_add_u32_e32 v3, 1, v1
	v_cmp_le_u32_e64 s[0:1], s6, v0
	s_nop 1
	v_cndmask_b32_e64 v0, v1, v3, s[0:1]
	v_addc_co_u32_e32 v4, vcc, 1, v0, vcc
	v_cmp_lt_u32_e32 vcc, 1, v4
	s_and_saveexec_b64 s[0:1], vcc
	s_cbranch_execz .LBB0_5
; %bb.2:
	v_and_b32_e32 v5, -2, v4
	v_add_u32_e32 v3, s6, v2
	s_lshl_b32 s11, s6, 1
	s_mov_b32 s7, s5
	s_mov_b32 s10, s5
	;; [unrolled: 1-line block ×3, first 2 shown]
	s_mov_b64 s[2:3], 0
	v_mov_b32_e32 v6, v5
	v_mov_b64_e32 v[0:1], v[2:3]
.LBB0_3:                                ; =>This Inner Loop Header: Depth=1
	v_cmp_gt_i32_e32 vcc, s10, v1
	v_add_u32_e32 v6, -2, v6
	v_ashrrev_i32_e32 v9, 31, v1
	v_cndmask_b32_e32 v3, -1, v1, vcc
	v_cmp_gt_i32_e32 vcc, s7, v0
	v_mov_b32_e32 v8, v1
	v_ashrrev_i32_e32 v11, 31, v0
	v_cndmask_b32_e32 v7, -1, v0, vcc
	v_mov_b32_e32 v10, v0
	v_cmp_eq_u32_e32 vcc, 0, v6
	v_add_u32_e32 v1, s12, v1
	v_add_u32_e32 v0, s11, v0
	v_lshl_add_u64 v[10:11], v[10:11], 2, s[8:9]
	v_lshl_add_u64 v[8:9], v[8:9], 2, s[8:9]
	s_or_b64 s[2:3], vcc, s[2:3]
	global_store_dword v[10:11], v7, off
	global_store_dword v[8:9], v3, off
	s_andn2_b64 exec, exec, s[2:3]
	s_cbranch_execnz .LBB0_3
; %bb.4:
	s_or_b64 exec, exec, s[2:3]
	v_mad_u64_u32 v[2:3], s[2:3], v5, s6, v[2:3]
	v_cmp_ne_u32_e32 vcc, v4, v5
	s_orn2_b64 s[2:3], vcc, exec
.LBB0_5:
	s_or_b64 exec, exec, s[0:1]
	s_and_b64 exec, exec, s[2:3]
	s_cbranch_execz .LBB0_8
; %bb.6:
	v_ashrrev_i32_e32 v3, 31, v2
	s_ashr_i32 s7, s6, 31
	v_lshl_add_u64 v[0:1], v[2:3], 2, s[8:9]
	s_lshl_b64 s[0:1], s[6:7], 2
	s_mov_b64 s[2:3], 0
.LBB0_7:                                ; =>This Inner Loop Header: Depth=1
	v_cmp_gt_i32_e32 vcc, s5, v2
	s_nop 1
	v_cndmask_b32_e32 v3, -1, v2, vcc
	v_add_u32_e32 v2, s6, v2
	v_cmp_le_i32_e32 vcc, s4, v2
	global_store_dword v[0:1], v3, off
	s_or_b64 s[2:3], vcc, s[2:3]
	v_lshl_add_u64 v[0:1], v[0:1], 0, s[0:1]
	s_andn2_b64 exec, exec, s[2:3]
	s_cbranch_execnz .LBB0_7
.LBB0_8:
	s_endpgm
	.section	.rodata,"a",@progbits
	.p2align	6, 0x0
	.amdhsa_kernel _Z14generate_tablePiii
		.amdhsa_group_segment_fixed_size 0
		.amdhsa_private_segment_fixed_size 0
		.amdhsa_kernarg_size 272
		.amdhsa_user_sgpr_count 2
		.amdhsa_user_sgpr_dispatch_ptr 0
		.amdhsa_user_sgpr_queue_ptr 0
		.amdhsa_user_sgpr_kernarg_segment_ptr 1
		.amdhsa_user_sgpr_dispatch_id 0
		.amdhsa_user_sgpr_kernarg_preload_length 0
		.amdhsa_user_sgpr_kernarg_preload_offset 0
		.amdhsa_user_sgpr_private_segment_size 0
		.amdhsa_uses_dynamic_stack 0
		.amdhsa_enable_private_segment 0
		.amdhsa_system_sgpr_workgroup_id_x 1
		.amdhsa_system_sgpr_workgroup_id_y 0
		.amdhsa_system_sgpr_workgroup_id_z 0
		.amdhsa_system_sgpr_workgroup_info 0
		.amdhsa_system_vgpr_workitem_id 0
		.amdhsa_next_free_vgpr 12
		.amdhsa_next_free_sgpr 13
		.amdhsa_accum_offset 12
		.amdhsa_reserve_vcc 1
		.amdhsa_float_round_mode_32 0
		.amdhsa_float_round_mode_16_64 0
		.amdhsa_float_denorm_mode_32 3
		.amdhsa_float_denorm_mode_16_64 3
		.amdhsa_dx10_clamp 1
		.amdhsa_ieee_mode 1
		.amdhsa_fp16_overflow 0
		.amdhsa_tg_split 0
		.amdhsa_exception_fp_ieee_invalid_op 0
		.amdhsa_exception_fp_denorm_src 0
		.amdhsa_exception_fp_ieee_div_zero 0
		.amdhsa_exception_fp_ieee_overflow 0
		.amdhsa_exception_fp_ieee_underflow 0
		.amdhsa_exception_fp_ieee_inexact 0
		.amdhsa_exception_int_div_zero 0
	.end_amdhsa_kernel
	.text
.Lfunc_end0:
	.size	_Z14generate_tablePiii, .Lfunc_end0-_Z14generate_tablePiii
                                        ; -- End function
	.set _Z14generate_tablePiii.num_vgpr, 12
	.set _Z14generate_tablePiii.num_agpr, 0
	.set _Z14generate_tablePiii.numbered_sgpr, 13
	.set _Z14generate_tablePiii.num_named_barrier, 0
	.set _Z14generate_tablePiii.private_seg_size, 0
	.set _Z14generate_tablePiii.uses_vcc, 1
	.set _Z14generate_tablePiii.uses_flat_scratch, 0
	.set _Z14generate_tablePiii.has_dyn_sized_stack, 0
	.set _Z14generate_tablePiii.has_recursion, 0
	.set _Z14generate_tablePiii.has_indirect_call, 0
	.section	.AMDGPU.csdata,"",@progbits
; Kernel info:
; codeLenInByte = 496
; TotalNumSgprs: 19
; NumVgprs: 12
; NumAgprs: 0
; TotalNumVgprs: 12
; ScratchSize: 0
; MemoryBound: 0
; FloatMode: 240
; IeeeMode: 1
; LDSByteSize: 0 bytes/workgroup (compile time only)
; SGPRBlocks: 2
; VGPRBlocks: 1
; NumSGPRsForWavesPerEU: 19
; NumVGPRsForWavesPerEU: 12
; AccumOffset: 12
; Occupancy: 8
; WaveLimiterHint : 0
; COMPUTE_PGM_RSRC2:SCRATCH_EN: 0
; COMPUTE_PGM_RSRC2:USER_SGPR: 2
; COMPUTE_PGM_RSRC2:TRAP_HANDLER: 0
; COMPUTE_PGM_RSRC2:TGID_X_EN: 1
; COMPUTE_PGM_RSRC2:TGID_Y_EN: 0
; COMPUTE_PGM_RSRC2:TGID_Z_EN: 0
; COMPUTE_PGM_RSRC2:TIDIG_COMP_CNT: 0
; COMPUTE_PGM_RSRC3_GFX90A:ACCUM_OFFSET: 2
; COMPUTE_PGM_RSRC3_GFX90A:TG_SPLIT: 0
	.text
	.protected	_Z17bitonic_sort_stepPiiiiPKci ; -- Begin function _Z17bitonic_sort_stepPiiiiPKci
	.globl	_Z17bitonic_sort_stepPiiiiPKci
	.p2align	8
	.type	_Z17bitonic_sort_stepPiiiiPKci,@function
_Z17bitonic_sort_stepPiiiiPKci:         ; @_Z17bitonic_sort_stepPiiiiPKci
; %bb.0:
	s_load_dword s3, s[0:1], 0x34
	s_load_dwordx4 s[4:7], s[0:1], 0x8
	s_waitcnt lgkmcnt(0)
	s_and_b32 s3, s3, 0xffff
	s_mul_i32 s2, s2, s3
	v_add_u32_e32 v4, s2, v0
	v_xor_b32_e32 v2, s5, v4
	v_min_u32_e32 v0, s4, v2
	v_cmp_gt_u32_e32 vcc, v0, v4
	s_and_saveexec_b64 s[2:3], vcc
	s_cbranch_execz .LBB1_15
; %bb.1:
	s_load_dwordx2 s[2:3], s[0:1], 0x0
	v_mov_b32_e32 v5, 0
	v_mov_b32_e32 v3, v5
	s_waitcnt lgkmcnt(0)
	v_lshl_add_u64 v[0:1], v[4:5], 2, s[2:3]
	v_lshl_add_u64 v[2:3], v[2:3], 2, s[2:3]
	global_load_dword v5, v[0:1], off
	global_load_dword v7, v[2:3], off
	v_and_b32_e32 v4, s6, v4
	v_cmp_eq_u32_e32 vcc, 0, v4
	s_waitcnt vmcnt(0)
	s_nop 0
	v_cndmask_b32_e32 v4, v5, v7, vcc
	v_cmp_lt_i32_e64 s[2:3], -1, v4
	s_and_b64 exec, exec, s[2:3]
	s_cbranch_execz .LBB1_15
; %bb.2:
	v_cndmask_b32_e32 v6, v7, v5, vcc
	v_cmp_lt_i32_e32 vcc, -1, v6
	s_mov_b64 s[4:5], -1
	s_and_saveexec_b64 s[2:3], vcc
	s_cbranch_execz .LBB1_13
; %bb.3:
	s_load_dword s14, s[0:1], 0x20
	s_waitcnt lgkmcnt(0)
	s_cmp_lt_i32 s14, 1
	s_cbranch_scc1 .LBB1_11
; %bb.4:
	v_cvt_f32_u32_e32 v8, s14
	s_load_dwordx2 s[0:1], s[0:1], 0x18
	s_sub_i32 s12, 0, s14
	v_mov_b32_e32 v9, 0
	v_rcp_iflag_f32_e32 v8, v8
	s_mov_b64 s[6:7], 0
	s_mov_b32 s15, s14
                                        ; implicit-def: $sgpr4_sgpr5
                                        ; implicit-def: $sgpr10_sgpr11
                                        ; implicit-def: $sgpr8_sgpr9
	v_mul_f32_e32 v8, 0x4f7ffffe, v8
	v_cvt_u32_f32_e32 v8, v8
	v_mul_lo_u32 v10, s12, v8
	v_mul_hi_u32 v10, v8, v10
	v_add_u32_e32 v8, v8, v10
	v_mad_u64_u32 v[10:11], s[12:13], v6, v8, 0
	v_mad_u64_u32 v[12:13], s[12:13], v4, v8, 0
	s_branch .LBB1_6
.LBB1_5:                                ;   in Loop: Header=BB1_6 Depth=1
	s_or_b64 exec, exec, s[12:13]
	s_and_b64 s[12:13], exec, s[10:11]
	s_or_b64 s[6:7], s[12:13], s[6:7]
	s_andn2_b64 s[4:5], s[4:5], exec
	s_and_b64 s[12:13], s[8:9], exec
	s_or_b64 s[4:5], s[4:5], s[12:13]
	s_andn2_b64 exec, exec, s[6:7]
	s_cbranch_execz .LBB1_8
.LBB1_6:                                ; =>This Inner Loop Header: Depth=1
	v_mul_lo_u32 v14, s14, v11
	v_sub_u32_e32 v18, v6, v14
	v_not_b32_e32 v14, v11
	v_mad_u64_u32 v[14:15], s[12:13], s14, v14, v[6:7]
	v_mul_lo_u32 v15, s14, v13
	v_sub_u32_e32 v15, v4, v15
	v_not_b32_e32 v16, v13
	v_mad_u64_u32 v[16:17], s[12:13], s14, v16, v[4:5]
	v_cmp_le_u32_e32 vcc, s14, v15
	s_or_b64 s[8:9], s[8:9], exec
	s_or_b64 s[10:11], s[10:11], exec
	v_cndmask_b32_e32 v15, v15, v16, vcc
	v_subrev_u32_e32 v16, s14, v15
	v_cmp_le_u32_e32 vcc, s14, v15
	s_nop 1
	v_cndmask_b32_e32 v16, v15, v16, vcc
	v_cmp_le_u32_e32 vcc, s14, v18
	s_nop 1
	v_cndmask_b32_e32 v14, v18, v14, vcc
	v_subrev_u32_e32 v15, s14, v14
	v_cmp_le_u32_e32 vcc, s14, v14
	s_nop 1
	v_cndmask_b32_e32 v17, v14, v15, vcc
	s_waitcnt lgkmcnt(0)
	global_load_ubyte v14, v16, s[0:1]
	global_load_ubyte v15, v17, s[0:1]
	s_waitcnt vmcnt(0)
	v_cmp_eq_u16_e32 vcc, v14, v15
	s_and_saveexec_b64 s[12:13], vcc
	s_cbranch_execz .LBB1_5
; %bb.7:                                ;   in Loop: Header=BB1_6 Depth=1
	s_add_i32 s15, s15, -1
	s_cmp_eq_u32 s15, 0
	s_cselect_b64 s[16:17], -1, 0
	s_andn2_b64 s[10:11], s[10:11], exec
	s_and_b64 s[16:17], s[16:17], exec
	v_add_u32_e32 v6, 1, v6
	v_lshl_add_u64 v[10:11], v[10:11], 0, v[8:9]
	v_add_u32_e32 v4, 1, v4
	v_lshl_add_u64 v[12:13], v[12:13], 0, v[8:9]
	s_andn2_b64 s[8:9], s[8:9], exec
	s_or_b64 s[10:11], s[10:11], s[16:17]
	s_branch .LBB1_5
.LBB1_8:
	s_or_b64 exec, exec, s[6:7]
	s_mov_b64 s[0:1], 0
                                        ; implicit-def: $sgpr6_sgpr7
	s_and_saveexec_b64 s[8:9], s[4:5]
	s_xor_b64 s[4:5], exec, s[8:9]
; %bb.9:
	s_mov_b64 s[0:1], exec
	v_cmp_lt_i16_sdwa s[6:7], sext(v14), sext(v15) src0_sel:BYTE_0 src1_sel:BYTE_0
; %bb.10:
	s_or_b64 exec, exec, s[4:5]
	s_branch .LBB1_12
.LBB1_11:
	s_mov_b64 s[0:1], 0
                                        ; implicit-def: $sgpr6_sgpr7
.LBB1_12:
	s_and_b64 s[0:1], s[0:1], s[6:7]
	s_orn2_b64 s[4:5], s[0:1], exec
.LBB1_13:
	s_or_b64 exec, exec, s[2:3]
	s_and_b64 exec, exec, s[4:5]
	s_cbranch_execz .LBB1_15
; %bb.14:
	global_store_dword v[0:1], v7, off
	global_store_dword v[2:3], v5, off
.LBB1_15:
	s_endpgm
	.section	.rodata,"a",@progbits
	.p2align	6, 0x0
	.amdhsa_kernel _Z17bitonic_sort_stepPiiiiPKci
		.amdhsa_group_segment_fixed_size 0
		.amdhsa_private_segment_fixed_size 0
		.amdhsa_kernarg_size 296
		.amdhsa_user_sgpr_count 2
		.amdhsa_user_sgpr_dispatch_ptr 0
		.amdhsa_user_sgpr_queue_ptr 0
		.amdhsa_user_sgpr_kernarg_segment_ptr 1
		.amdhsa_user_sgpr_dispatch_id 0
		.amdhsa_user_sgpr_kernarg_preload_length 0
		.amdhsa_user_sgpr_kernarg_preload_offset 0
		.amdhsa_user_sgpr_private_segment_size 0
		.amdhsa_uses_dynamic_stack 0
		.amdhsa_enable_private_segment 0
		.amdhsa_system_sgpr_workgroup_id_x 1
		.amdhsa_system_sgpr_workgroup_id_y 0
		.amdhsa_system_sgpr_workgroup_id_z 0
		.amdhsa_system_sgpr_workgroup_info 0
		.amdhsa_system_vgpr_workitem_id 0
		.amdhsa_next_free_vgpr 19
		.amdhsa_next_free_sgpr 18
		.amdhsa_accum_offset 20
		.amdhsa_reserve_vcc 1
		.amdhsa_float_round_mode_32 0
		.amdhsa_float_round_mode_16_64 0
		.amdhsa_float_denorm_mode_32 3
		.amdhsa_float_denorm_mode_16_64 3
		.amdhsa_dx10_clamp 1
		.amdhsa_ieee_mode 1
		.amdhsa_fp16_overflow 0
		.amdhsa_tg_split 0
		.amdhsa_exception_fp_ieee_invalid_op 0
		.amdhsa_exception_fp_denorm_src 0
		.amdhsa_exception_fp_ieee_div_zero 0
		.amdhsa_exception_fp_ieee_overflow 0
		.amdhsa_exception_fp_ieee_underflow 0
		.amdhsa_exception_fp_ieee_inexact 0
		.amdhsa_exception_int_div_zero 0
	.end_amdhsa_kernel
	.text
.Lfunc_end1:
	.size	_Z17bitonic_sort_stepPiiiiPKci, .Lfunc_end1-_Z17bitonic_sort_stepPiiiiPKci
                                        ; -- End function
	.set _Z17bitonic_sort_stepPiiiiPKci.num_vgpr, 19
	.set _Z17bitonic_sort_stepPiiiiPKci.num_agpr, 0
	.set _Z17bitonic_sort_stepPiiiiPKci.numbered_sgpr, 18
	.set _Z17bitonic_sort_stepPiiiiPKci.num_named_barrier, 0
	.set _Z17bitonic_sort_stepPiiiiPKci.private_seg_size, 0
	.set _Z17bitonic_sort_stepPiiiiPKci.uses_vcc, 1
	.set _Z17bitonic_sort_stepPiiiiPKci.uses_flat_scratch, 0
	.set _Z17bitonic_sort_stepPiiiiPKci.has_dyn_sized_stack, 0
	.set _Z17bitonic_sort_stepPiiiiPKci.has_recursion, 0
	.set _Z17bitonic_sort_stepPiiiiPKci.has_indirect_call, 0
	.section	.AMDGPU.csdata,"",@progbits
; Kernel info:
; codeLenInByte = 580
; TotalNumSgprs: 24
; NumVgprs: 19
; NumAgprs: 0
; TotalNumVgprs: 19
; ScratchSize: 0
; MemoryBound: 0
; FloatMode: 240
; IeeeMode: 1
; LDSByteSize: 0 bytes/workgroup (compile time only)
; SGPRBlocks: 2
; VGPRBlocks: 2
; NumSGPRsForWavesPerEU: 24
; NumVGPRsForWavesPerEU: 19
; AccumOffset: 20
; Occupancy: 8
; WaveLimiterHint : 0
; COMPUTE_PGM_RSRC2:SCRATCH_EN: 0
; COMPUTE_PGM_RSRC2:USER_SGPR: 2
; COMPUTE_PGM_RSRC2:TRAP_HANDLER: 0
; COMPUTE_PGM_RSRC2:TGID_X_EN: 1
; COMPUTE_PGM_RSRC2:TGID_Y_EN: 0
; COMPUTE_PGM_RSRC2:TGID_Z_EN: 0
; COMPUTE_PGM_RSRC2:TIDIG_COMP_CNT: 0
; COMPUTE_PGM_RSRC3_GFX90A:ACCUM_OFFSET: 4
; COMPUTE_PGM_RSRC3_GFX90A:TG_SPLIT: 0
	.text
	.protected	_Z20reconstruct_sequencePKiPKcPci ; -- Begin function _Z20reconstruct_sequencePKiPKcPci
	.globl	_Z20reconstruct_sequencePKiPKcPci
	.p2align	8
	.type	_Z20reconstruct_sequencePKiPKcPci,@function
_Z20reconstruct_sequencePKiPKcPci:      ; @_Z20reconstruct_sequencePKiPKcPci
; %bb.0:
	s_load_dword s3, s[0:1], 0x2c
	s_load_dword s14, s[0:1], 0x18
	s_add_u32 s10, s0, 32
	s_addc_u32 s11, s1, 0
	s_waitcnt lgkmcnt(0)
	s_and_b32 s3, s3, 0xffff
	s_mul_i32 s4, s2, s3
	v_add_u32_e32 v2, s4, v0
	v_cmp_gt_i32_e32 vcc, s14, v2
	s_and_saveexec_b64 s[4:5], vcc
	s_cbranch_execz .LBB2_10
; %bb.1:
	s_load_dword s12, s[10:11], 0x0
	s_load_dwordx4 s[4:7], s[0:1], 0x0
	s_load_dwordx2 s[8:9], s[0:1], 0x10
	s_add_i32 s15, s14, -1
                                        ; implicit-def: $vgpr7
	s_waitcnt lgkmcnt(0)
	s_mul_i32 s10, s12, s3
	v_cvt_f32_u32_e32 v1, s10
	s_add_i32 s0, s2, s12
	s_mul_i32 s0, s0, s3
	s_sub_i32 s2, 0, s10
	v_rcp_iflag_f32_e32 v1, v1
	v_add_u32_e32 v3, s0, v0
	v_mov_b32_e32 v4, s0
	v_max_i32_e32 v5, s14, v3
	v_mul_f32_e32 v1, 0x4f7ffffe, v1
	v_cvt_u32_f32_e32 v1, v1
	v_cmp_gt_i32_e32 vcc, s14, v3
	v_mul_lo_u32 v3, s2, v1
	s_nop 0
	v_addc_co_u32_e64 v0, s[0:1], v0, v4, vcc
	v_mul_hi_u32 v3, v1, v3
	v_sub_u32_e32 v0, v5, v0
	v_add_u32_e32 v1, v1, v3
	v_mul_hi_u32 v1, v0, v1
	v_mul_lo_u32 v3, v1, s10
	v_sub_u32_e32 v0, v0, v3
	v_add_u32_e32 v3, 1, v1
	v_cmp_le_u32_e64 s[0:1], s10, v0
	s_nop 1
	v_cndmask_b32_e64 v1, v1, v3, s[0:1]
	v_subrev_u32_e32 v3, s10, v0
	v_cndmask_b32_e64 v0, v0, v3, s[0:1]
	v_add_u32_e32 v3, 1, v1
	v_cmp_le_u32_e64 s[0:1], s10, v0
	s_nop 1
	v_cndmask_b32_e64 v0, v1, v3, s[0:1]
	v_addc_co_u32_e32 v6, vcc, 1, v0, vcc
	v_cmp_lt_u32_e32 vcc, 1, v6
	s_mov_b64 s[0:1], 0
                                        ; implicit-def: $vgpr0_vgpr1
	s_and_saveexec_b64 s[2:3], vcc
	s_xor_b64 s[2:3], exec, s[2:3]
	s_cbranch_execnz .LBB2_4
; %bb.2:
	s_andn2_saveexec_b64 s[2:3], s[2:3]
	s_cbranch_execnz .LBB2_7
.LBB2_3:
	s_or_b64 exec, exec, s[2:3]
	s_and_b64 exec, exec, s[0:1]
	s_cbranch_execnz .LBB2_8
	s_branch .LBB2_10
.LBB2_4:
	s_abs_i32 s11, s14
	v_cvt_f32_u32_e32 v0, s11
	s_sub_i32 s0, 0, s11
	v_and_b32_e32 v7, -2, v6
	v_add_u32_e32 v3, s10, v2
	v_rcp_iflag_f32_e32 v0, v0
	s_lshl_b32 s17, s10, 1
	s_mov_b32 s16, s15
	v_mov_b32_e32 v1, 0
	v_mul_f32_e32 v0, 0x4f7ffffe, v0
	v_cvt_u32_f32_e32 v0, v0
	s_mov_b64 s[12:13], 0
	s_mov_b32 s18, s17
	v_mov_b32_e32 v8, v7
	v_mul_lo_u32 v4, s0, v0
	v_mul_hi_u32 v4, v0, v4
	v_add_u32_e32 v0, v0, v4
	v_mov_b64_e32 v[4:5], v[2:3]
.LBB2_5:                                ; =>This Inner Loop Header: Depth=1
	v_ashrrev_i32_e32 v11, 31, v5
	v_mov_b32_e32 v10, v5
	v_ashrrev_i32_e32 v13, 31, v4
	v_mov_b32_e32 v12, v4
	v_lshl_add_u64 v[16:17], v[10:11], 2, s[4:5]
	v_lshl_add_u64 v[14:15], v[12:13], 2, s[4:5]
	global_load_dword v3, v[16:17], off
	global_load_dword v9, v[14:15], off
	v_add_u32_e32 v8, -2, v8
	v_add_u32_e32 v5, s18, v5
	v_add_u32_e32 v4, s17, v4
	v_lshl_add_u64 v[12:13], s[8:9], 0, v[12:13]
	v_lshl_add_u64 v[10:11], s[8:9], 0, v[10:11]
	s_waitcnt vmcnt(1)
	v_add_u32_e32 v3, s16, v3
	s_waitcnt vmcnt(0)
	v_add_u32_e32 v9, s15, v9
	v_sub_u32_e32 v15, 0, v9
	v_ashrrev_i32_e32 v14, 31, v9
	v_sub_u32_e32 v17, 0, v3
	v_max_i32_e32 v9, v9, v15
	v_ashrrev_i32_e32 v16, 31, v3
	v_max_i32_e32 v3, v3, v17
	v_mul_hi_u32 v15, v9, v0
	v_mul_hi_u32 v17, v3, v0
	v_mul_lo_u32 v15, v15, s11
	v_mul_lo_u32 v17, v17, s11
	v_sub_u32_e32 v9, v9, v15
	v_sub_u32_e32 v3, v3, v17
	v_subrev_u32_e32 v15, s11, v9
	v_cmp_le_u32_e64 s[0:1], s11, v9
	v_subrev_u32_e32 v17, s11, v3
	v_cmp_le_u32_e32 vcc, s11, v3
	v_cndmask_b32_e64 v9, v9, v15, s[0:1]
	v_subrev_u32_e32 v15, s11, v9
	v_cndmask_b32_e32 v3, v3, v17, vcc
	v_cmp_le_u32_e64 s[0:1], s11, v9
	v_subrev_u32_e32 v17, s11, v3
	v_cmp_le_u32_e32 vcc, s11, v3
	v_cndmask_b32_e64 v9, v9, v15, s[0:1]
	v_xor_b32_e32 v9, v9, v14
	v_cndmask_b32_e32 v3, v3, v17, vcc
	v_xor_b32_e32 v3, v3, v16
	v_sub_u32_e32 v14, v9, v14
	v_sub_u32_e32 v16, v3, v16
	v_ashrrev_i32_e32 v15, 31, v14
	v_ashrrev_i32_e32 v17, 31, v16
	v_lshl_add_u64 v[14:15], s[6:7], 0, v[14:15]
	v_lshl_add_u64 v[16:17], s[6:7], 0, v[16:17]
	global_load_ubyte v3, v[14:15], off
	global_load_ubyte v9, v[16:17], off
	v_cmp_eq_u32_e32 vcc, 0, v8
	s_or_b64 s[12:13], vcc, s[12:13]
	s_waitcnt vmcnt(1)
	global_store_byte v[12:13], v3, off
	s_waitcnt vmcnt(1)
	global_store_byte v[10:11], v9, off
	s_andn2_b64 exec, exec, s[12:13]
	s_cbranch_execnz .LBB2_5
; %bb.6:
	s_or_b64 exec, exec, s[12:13]
	v_mad_u64_u32 v[2:3], s[0:1], v7, s10, v[2:3]
	v_cmp_ne_u32_e32 vcc, v6, v7
	v_mov_b32_e32 v7, s11
	s_and_b64 s[0:1], vcc, exec
	s_andn2_saveexec_b64 s[2:3], s[2:3]
	s_cbranch_execz .LBB2_3
.LBB2_7:
	s_abs_i32 s11, s14
	v_cvt_f32_u32_e32 v0, s11
	s_sub_i32 s12, 0, s11
	v_mov_b32_e32 v1, 0
	v_mov_b32_e32 v7, s11
	v_rcp_iflag_f32_e32 v0, v0
	s_or_b64 s[0:1], s[0:1], exec
	v_mul_f32_e32 v0, 0x4f7ffffe, v0
	v_cvt_u32_f32_e32 v0, v0
	v_mul_lo_u32 v3, s12, v0
	v_mul_hi_u32 v3, v0, v3
	v_add_u32_e32 v0, v0, v3
	s_or_b64 exec, exec, s[2:3]
	s_and_b64 exec, exec, s[0:1]
	s_cbranch_execz .LBB2_10
.LBB2_8:
	v_ashrrev_i32_e32 v3, 31, v2
	s_ashr_i32 s11, s10, 31
	v_lshl_add_u64 v[4:5], v[2:3], 2, s[4:5]
	s_lshl_b64 s[0:1], s[10:11], 2
	s_mov_b64 s[2:3], 0
.LBB2_9:                                ; =>This Inner Loop Header: Depth=1
	global_load_dword v6, v[4:5], off
	v_lshl_add_u64 v[4:5], v[4:5], 0, s[0:1]
	s_waitcnt vmcnt(0)
	v_add_u32_e32 v6, s15, v6
	v_sub_u32_e32 v8, 0, v6
	v_max_i32_e32 v11, v6, v8
	v_ashrrev_i32_e32 v10, 31, v6
	v_mul_hi_u32 v6, v11, v0
	v_mad_u64_u32 v[8:9], s[4:5], v11, v1, v[6:7]
	v_mul_lo_u32 v6, v8, v7
	v_sub_u32_e32 v6, v11, v6
	v_sub_u32_e32 v8, v6, v7
	v_cmp_ge_u32_e32 vcc, v6, v7
	s_nop 1
	v_cndmask_b32_e32 v6, v6, v8, vcc
	v_sub_u32_e32 v8, v6, v7
	v_cmp_ge_u32_e32 vcc, v6, v7
	s_nop 1
	v_cndmask_b32_e32 v6, v6, v8, vcc
	v_xor_b32_e32 v6, v6, v10
	v_sub_u32_e32 v8, v6, v10
	v_ashrrev_i32_e32 v9, 31, v8
	v_lshl_add_u64 v[8:9], s[6:7], 0, v[8:9]
	global_load_ubyte v6, v[8:9], off
	v_lshl_add_u64 v[8:9], s[8:9], 0, v[2:3]
	v_lshl_add_u64 v[2:3], v[2:3], 0, s[10:11]
	v_cmp_le_i32_e32 vcc, s14, v2
	s_or_b64 s[2:3], vcc, s[2:3]
	s_waitcnt vmcnt(0)
	global_store_byte v[8:9], v6, off
	s_andn2_b64 exec, exec, s[2:3]
	s_cbranch_execnz .LBB2_9
.LBB2_10:
	s_endpgm
	.section	.rodata,"a",@progbits
	.p2align	6, 0x0
	.amdhsa_kernel _Z20reconstruct_sequencePKiPKcPci
		.amdhsa_group_segment_fixed_size 0
		.amdhsa_private_segment_fixed_size 0
		.amdhsa_kernarg_size 288
		.amdhsa_user_sgpr_count 2
		.amdhsa_user_sgpr_dispatch_ptr 0
		.amdhsa_user_sgpr_queue_ptr 0
		.amdhsa_user_sgpr_kernarg_segment_ptr 1
		.amdhsa_user_sgpr_dispatch_id 0
		.amdhsa_user_sgpr_kernarg_preload_length 0
		.amdhsa_user_sgpr_kernarg_preload_offset 0
		.amdhsa_user_sgpr_private_segment_size 0
		.amdhsa_uses_dynamic_stack 0
		.amdhsa_enable_private_segment 0
		.amdhsa_system_sgpr_workgroup_id_x 1
		.amdhsa_system_sgpr_workgroup_id_y 0
		.amdhsa_system_sgpr_workgroup_id_z 0
		.amdhsa_system_sgpr_workgroup_info 0
		.amdhsa_system_vgpr_workitem_id 0
		.amdhsa_next_free_vgpr 18
		.amdhsa_next_free_sgpr 19
		.amdhsa_accum_offset 20
		.amdhsa_reserve_vcc 1
		.amdhsa_float_round_mode_32 0
		.amdhsa_float_round_mode_16_64 0
		.amdhsa_float_denorm_mode_32 3
		.amdhsa_float_denorm_mode_16_64 3
		.amdhsa_dx10_clamp 1
		.amdhsa_ieee_mode 1
		.amdhsa_fp16_overflow 0
		.amdhsa_tg_split 0
		.amdhsa_exception_fp_ieee_invalid_op 0
		.amdhsa_exception_fp_denorm_src 0
		.amdhsa_exception_fp_ieee_div_zero 0
		.amdhsa_exception_fp_ieee_overflow 0
		.amdhsa_exception_fp_ieee_underflow 0
		.amdhsa_exception_fp_ieee_inexact 0
		.amdhsa_exception_int_div_zero 0
	.end_amdhsa_kernel
	.text
.Lfunc_end2:
	.size	_Z20reconstruct_sequencePKiPKcPci, .Lfunc_end2-_Z20reconstruct_sequencePKiPKcPci
                                        ; -- End function
	.set _Z20reconstruct_sequencePKiPKcPci.num_vgpr, 18
	.set _Z20reconstruct_sequencePKiPKcPci.num_agpr, 0
	.set _Z20reconstruct_sequencePKiPKcPci.numbered_sgpr, 19
	.set _Z20reconstruct_sequencePKiPKcPci.num_named_barrier, 0
	.set _Z20reconstruct_sequencePKiPKcPci.private_seg_size, 0
	.set _Z20reconstruct_sequencePKiPKcPci.uses_vcc, 1
	.set _Z20reconstruct_sequencePKiPKcPci.uses_flat_scratch, 0
	.set _Z20reconstruct_sequencePKiPKcPci.has_dyn_sized_stack, 0
	.set _Z20reconstruct_sequencePKiPKcPci.has_recursion, 0
	.set _Z20reconstruct_sequencePKiPKcPci.has_indirect_call, 0
	.section	.AMDGPU.csdata,"",@progbits
; Kernel info:
; codeLenInByte = 1004
; TotalNumSgprs: 25
; NumVgprs: 18
; NumAgprs: 0
; TotalNumVgprs: 18
; ScratchSize: 0
; MemoryBound: 0
; FloatMode: 240
; IeeeMode: 1
; LDSByteSize: 0 bytes/workgroup (compile time only)
; SGPRBlocks: 3
; VGPRBlocks: 2
; NumSGPRsForWavesPerEU: 25
; NumVGPRsForWavesPerEU: 18
; AccumOffset: 20
; Occupancy: 8
; WaveLimiterHint : 1
; COMPUTE_PGM_RSRC2:SCRATCH_EN: 0
; COMPUTE_PGM_RSRC2:USER_SGPR: 2
; COMPUTE_PGM_RSRC2:TRAP_HANDLER: 0
; COMPUTE_PGM_RSRC2:TGID_X_EN: 1
; COMPUTE_PGM_RSRC2:TGID_Y_EN: 0
; COMPUTE_PGM_RSRC2:TGID_Z_EN: 0
; COMPUTE_PGM_RSRC2:TIDIG_COMP_CNT: 0
; COMPUTE_PGM_RSRC3_GFX90A:ACCUM_OFFSET: 4
; COMPUTE_PGM_RSRC3_GFX90A:TG_SPLIT: 0
	.text
	.p2alignl 6, 3212836864
	.fill 256, 4, 3212836864
	.section	.AMDGPU.gpr_maximums,"",@progbits
	.set amdgpu.max_num_vgpr, 0
	.set amdgpu.max_num_agpr, 0
	.set amdgpu.max_num_sgpr, 0
	.text
	.type	__hip_cuid_51ac9bece5f879e,@object ; @__hip_cuid_51ac9bece5f879e
	.section	.bss,"aw",@nobits
	.globl	__hip_cuid_51ac9bece5f879e
__hip_cuid_51ac9bece5f879e:
	.byte	0                               ; 0x0
	.size	__hip_cuid_51ac9bece5f879e, 1

	.ident	"AMD clang version 22.0.0git (https://github.com/RadeonOpenCompute/llvm-project roc-7.2.4 26084 f58b06dce1f9c15707c5f808fd002e18c2accf7e)"
	.section	".note.GNU-stack","",@progbits
	.addrsig
	.addrsig_sym __hip_cuid_51ac9bece5f879e
	.amdgpu_metadata
---
amdhsa.kernels:
  - .agpr_count:     0
    .args:
      - .address_space:  global
        .offset:         0
        .size:           8
        .value_kind:     global_buffer
      - .offset:         8
        .size:           4
        .value_kind:     by_value
      - .offset:         12
        .size:           4
        .value_kind:     by_value
      - .offset:         16
        .size:           4
        .value_kind:     hidden_block_count_x
      - .offset:         20
        .size:           4
        .value_kind:     hidden_block_count_y
      - .offset:         24
        .size:           4
        .value_kind:     hidden_block_count_z
      - .offset:         28
        .size:           2
        .value_kind:     hidden_group_size_x
      - .offset:         30
        .size:           2
        .value_kind:     hidden_group_size_y
      - .offset:         32
        .size:           2
        .value_kind:     hidden_group_size_z
      - .offset:         34
        .size:           2
        .value_kind:     hidden_remainder_x
      - .offset:         36
        .size:           2
        .value_kind:     hidden_remainder_y
      - .offset:         38
        .size:           2
        .value_kind:     hidden_remainder_z
      - .offset:         56
        .size:           8
        .value_kind:     hidden_global_offset_x
      - .offset:         64
        .size:           8
        .value_kind:     hidden_global_offset_y
      - .offset:         72
        .size:           8
        .value_kind:     hidden_global_offset_z
      - .offset:         80
        .size:           2
        .value_kind:     hidden_grid_dims
    .group_segment_fixed_size: 0
    .kernarg_segment_align: 8
    .kernarg_segment_size: 272
    .language:       OpenCL C
    .language_version:
      - 2
      - 0
    .max_flat_workgroup_size: 1024
    .name:           _Z14generate_tablePiii
    .private_segment_fixed_size: 0
    .sgpr_count:     19
    .sgpr_spill_count: 0
    .symbol:         _Z14generate_tablePiii.kd
    .uniform_work_group_size: 1
    .uses_dynamic_stack: false
    .vgpr_count:     12
    .vgpr_spill_count: 0
    .wavefront_size: 64
  - .agpr_count:     0
    .args:
      - .address_space:  global
        .offset:         0
        .size:           8
        .value_kind:     global_buffer
      - .offset:         8
        .size:           4
        .value_kind:     by_value
      - .offset:         12
        .size:           4
        .value_kind:     by_value
      - .offset:         16
        .size:           4
        .value_kind:     by_value
      - .actual_access:  read_only
        .address_space:  global
        .offset:         24
        .size:           8
        .value_kind:     global_buffer
      - .offset:         32
        .size:           4
        .value_kind:     by_value
      - .offset:         40
        .size:           4
        .value_kind:     hidden_block_count_x
      - .offset:         44
        .size:           4
        .value_kind:     hidden_block_count_y
      - .offset:         48
        .size:           4
        .value_kind:     hidden_block_count_z
      - .offset:         52
        .size:           2
        .value_kind:     hidden_group_size_x
      - .offset:         54
        .size:           2
        .value_kind:     hidden_group_size_y
      - .offset:         56
        .size:           2
        .value_kind:     hidden_group_size_z
      - .offset:         58
        .size:           2
        .value_kind:     hidden_remainder_x
      - .offset:         60
        .size:           2
        .value_kind:     hidden_remainder_y
      - .offset:         62
        .size:           2
        .value_kind:     hidden_remainder_z
      - .offset:         80
        .size:           8
        .value_kind:     hidden_global_offset_x
      - .offset:         88
        .size:           8
        .value_kind:     hidden_global_offset_y
      - .offset:         96
        .size:           8
        .value_kind:     hidden_global_offset_z
      - .offset:         104
        .size:           2
        .value_kind:     hidden_grid_dims
    .group_segment_fixed_size: 0
    .kernarg_segment_align: 8
    .kernarg_segment_size: 296
    .language:       OpenCL C
    .language_version:
      - 2
      - 0
    .max_flat_workgroup_size: 1024
    .name:           _Z17bitonic_sort_stepPiiiiPKci
    .private_segment_fixed_size: 0
    .sgpr_count:     24
    .sgpr_spill_count: 0
    .symbol:         _Z17bitonic_sort_stepPiiiiPKci.kd
    .uniform_work_group_size: 1
    .uses_dynamic_stack: false
    .vgpr_count:     19
    .vgpr_spill_count: 0
    .wavefront_size: 64
  - .agpr_count:     0
    .args:
      - .actual_access:  read_only
        .address_space:  global
        .offset:         0
        .size:           8
        .value_kind:     global_buffer
      - .actual_access:  read_only
        .address_space:  global
        .offset:         8
        .size:           8
        .value_kind:     global_buffer
      - .actual_access:  write_only
        .address_space:  global
        .offset:         16
        .size:           8
        .value_kind:     global_buffer
      - .offset:         24
        .size:           4
        .value_kind:     by_value
      - .offset:         32
        .size:           4
        .value_kind:     hidden_block_count_x
      - .offset:         36
        .size:           4
        .value_kind:     hidden_block_count_y
      - .offset:         40
        .size:           4
        .value_kind:     hidden_block_count_z
      - .offset:         44
        .size:           2
        .value_kind:     hidden_group_size_x
      - .offset:         46
        .size:           2
        .value_kind:     hidden_group_size_y
      - .offset:         48
        .size:           2
        .value_kind:     hidden_group_size_z
      - .offset:         50
        .size:           2
        .value_kind:     hidden_remainder_x
      - .offset:         52
        .size:           2
        .value_kind:     hidden_remainder_y
      - .offset:         54
        .size:           2
        .value_kind:     hidden_remainder_z
      - .offset:         72
        .size:           8
        .value_kind:     hidden_global_offset_x
      - .offset:         80
        .size:           8
        .value_kind:     hidden_global_offset_y
      - .offset:         88
        .size:           8
        .value_kind:     hidden_global_offset_z
      - .offset:         96
        .size:           2
        .value_kind:     hidden_grid_dims
    .group_segment_fixed_size: 0
    .kernarg_segment_align: 8
    .kernarg_segment_size: 288
    .language:       OpenCL C
    .language_version:
      - 2
      - 0
    .max_flat_workgroup_size: 1024
    .name:           _Z20reconstruct_sequencePKiPKcPci
    .private_segment_fixed_size: 0
    .sgpr_count:     25
    .sgpr_spill_count: 0
    .symbol:         _Z20reconstruct_sequencePKiPKcPci.kd
    .uniform_work_group_size: 1
    .uses_dynamic_stack: false
    .vgpr_count:     18
    .vgpr_spill_count: 0
    .wavefront_size: 64
amdhsa.target:   amdgcn-amd-amdhsa--gfx950
amdhsa.version:
  - 1
  - 2
...

	.end_amdgpu_metadata
